;; amdgpu-corpus repo=ROCm/rocFFT kind=compiled arch=gfx1030 opt=O3
	.text
	.amdgcn_target "amdgcn-amd-amdhsa--gfx1030"
	.amdhsa_code_object_version 6
	.protected	fft_rtc_back_len243_factors_3_3_3_3_3_wgs_216_tpt_27_dp_op_CI_CI_sbrc_aligned_dirReg ; -- Begin function fft_rtc_back_len243_factors_3_3_3_3_3_wgs_216_tpt_27_dp_op_CI_CI_sbrc_aligned_dirReg
	.globl	fft_rtc_back_len243_factors_3_3_3_3_3_wgs_216_tpt_27_dp_op_CI_CI_sbrc_aligned_dirReg
	.p2align	8
	.type	fft_rtc_back_len243_factors_3_3_3_3_3_wgs_216_tpt_27_dp_op_CI_CI_sbrc_aligned_dirReg,@function
fft_rtc_back_len243_factors_3_3_3_3_3_wgs_216_tpt_27_dp_op_CI_CI_sbrc_aligned_dirReg: ; @fft_rtc_back_len243_factors_3_3_3_3_3_wgs_216_tpt_27_dp_op_CI_CI_sbrc_aligned_dirReg
; %bb.0:
	s_clause 0x2
	s_load_dwordx8 s[8:15], s[4:5], 0x0
	s_load_dwordx2 s[26:27], s[4:5], 0x20
	s_load_dwordx4 s[16:19], s[4:5], 0x58
	s_mov_b32 s30, 0
	s_mov_b32 s28, 3
	s_mov_b64 s[34:35], 2
	s_mov_b32 s25, s30
	s_waitcnt lgkmcnt(0)
	s_load_dword s0, s[12:13], 0x8
	s_load_dwordx4 s[20:23], s[14:15], 0x0
	s_waitcnt lgkmcnt(0)
	s_add_i32 s0, s0, -1
	s_lshr_b32 s0, s0, 3
	s_add_i32 s7, s0, 1
	v_cvt_f32_u32_e32 v1, s7
	s_sub_i32 s1, 0, s7
	v_rcp_iflag_f32_e32 v1, v1
	v_mul_f32_e32 v1, 0x4f7ffffe, v1
	v_cvt_u32_f32_e32 v1, v1
	v_readfirstlane_b32 s0, v1
	s_mul_i32 s1, s1, s0
	s_mul_hi_u32 s1, s0, s1
	s_add_i32 s0, s0, s1
	s_mul_hi_u32 s4, s6, s0
	s_load_dwordx4 s[0:3], s[26:27], 0x0
	s_mul_i32 s5, s4, s7
	s_waitcnt lgkmcnt(0)
	s_sub_i32 s3, s6, s5
	s_add_i32 s5, s4, 1
	s_sub_i32 s23, s3, s7
	s_cmp_ge_u32 s3, s7
	s_cselect_b32 s4, s5, s4
	s_cselect_b32 s3, s23, s3
	s_add_i32 s5, s4, 1
	s_cmp_ge_u32 s3, s7
	s_cselect_b32 s3, s5, s4
	v_cmp_gt_u64_e64 s4, s[10:11], 2
	s_mul_i32 s5, s3, s7
	s_sub_i32 s5, s6, s5
	s_lshl_b32 s5, s5, 3
	s_and_b32 vcc_lo, exec_lo, s4
	s_mul_i32 s23, s1, s5
	s_mul_hi_u32 s29, s0, s5
	s_mul_i32 s24, s5, s22
	s_mul_i32 s4, s0, s5
	s_add_i32 s5, s29, s23
	s_cbranch_vccz .LBB0_8
.LBB0_1:                                ; =>This Inner Loop Header: Depth=1
	s_lshl_b64 s[36:37], s[34:35], 3
	s_add_u32 s34, s12, s36
	s_addc_u32 s35, s13, s37
	s_load_dwordx2 s[34:35], s[34:35], 0x0
	s_waitcnt lgkmcnt(0)
	s_mov_b32 s31, s35
	s_cmp_lg_u64 s[30:31], 0
	s_cbranch_scc0 .LBB0_6
; %bb.2:                                ;   in Loop: Header=BB0_1 Depth=1
	v_cvt_f32_u32_e32 v1, s34
	v_cvt_f32_u32_e32 v2, s35
	s_sub_u32 s31, 0, s34
	s_subb_u32 s33, 0, s35
	v_fmac_f32_e32 v1, 0x4f800000, v2
	v_rcp_f32_e32 v1, v1
	v_mul_f32_e32 v1, 0x5f7ffffc, v1
	v_mul_f32_e32 v2, 0x2f800000, v1
	v_trunc_f32_e32 v2, v2
	v_fmac_f32_e32 v1, 0xcf800000, v2
	v_cvt_u32_f32_e32 v2, v2
	v_cvt_u32_f32_e32 v1, v1
	v_readfirstlane_b32 s23, v2
	v_readfirstlane_b32 s29, v1
	s_mul_i32 s38, s31, s23
	s_mul_hi_u32 s40, s31, s29
	s_mul_i32 s39, s33, s29
	s_add_i32 s38, s40, s38
	s_mul_i32 s41, s31, s29
	s_add_i32 s38, s38, s39
	s_mul_hi_u32 s40, s29, s41
	s_mul_hi_u32 s42, s23, s41
	s_mul_i32 s39, s23, s41
	s_mul_hi_u32 s41, s29, s38
	s_mul_i32 s29, s29, s38
	s_mul_hi_u32 s43, s23, s38
	s_add_u32 s29, s40, s29
	s_addc_u32 s40, 0, s41
	s_add_u32 s29, s29, s39
	s_mul_i32 s38, s23, s38
	s_addc_u32 s29, s40, s42
	s_addc_u32 s39, s43, 0
	s_add_u32 s29, s29, s38
	s_addc_u32 s38, 0, s39
	v_add_co_u32 v1, s29, v1, s29
	s_cmp_lg_u32 s29, 0
	s_addc_u32 s23, s23, s38
	v_readfirstlane_b32 s29, v1
	s_mul_i32 s38, s31, s23
	s_mul_hi_u32 s39, s31, s29
	s_mul_i32 s33, s33, s29
	s_add_i32 s38, s39, s38
	s_mul_i32 s31, s31, s29
	s_add_i32 s38, s38, s33
	s_mul_hi_u32 s39, s23, s31
	s_mul_i32 s40, s23, s31
	s_mul_hi_u32 s31, s29, s31
	s_mul_hi_u32 s41, s29, s38
	s_mul_i32 s29, s29, s38
	s_mul_hi_u32 s33, s23, s38
	s_add_u32 s29, s31, s29
	s_addc_u32 s31, 0, s41
	s_add_u32 s29, s29, s40
	s_mul_i32 s38, s23, s38
	s_addc_u32 s29, s31, s39
	s_addc_u32 s31, s33, 0
	s_add_u32 s29, s29, s38
	s_addc_u32 s31, 0, s31
	v_add_co_u32 v1, s29, v1, s29
	s_cmp_lg_u32 s29, 0
	s_addc_u32 s23, s23, s31
	v_readfirstlane_b32 s29, v1
	s_mul_i32 s31, s3, s23
	s_mul_hi_u32 s23, s3, s23
	s_mul_hi_u32 s29, s3, s29
	s_add_u32 s29, s29, s31
	s_addc_u32 s29, 0, s23
	s_mul_i32 s23, s35, s29
	s_mul_hi_u32 s31, s34, s29
	s_mul_i32 s33, s34, s29
	s_add_i32 s31, s31, s23
	v_sub_co_u32 v1, s23, s3, s33
	s_sub_i32 s33, 0, s31
	s_cmp_lg_u32 s23, 0
	v_sub_co_u32 v2, s38, v1, s34
	s_subb_u32 s33, s33, s35
	s_cmp_lg_u32 s38, 0
	v_readfirstlane_b32 s38, v2
	s_subb_u32 s33, s33, 0
	s_cmp_ge_u32 s33, s35
	s_cselect_b32 s39, -1, 0
	s_cmp_ge_u32 s38, s34
	s_cselect_b32 s38, -1, 0
	s_cmp_eq_u32 s33, s35
	s_cselect_b32 s33, s38, s39
	s_add_u32 s38, s29, 1
	s_addc_u32 s39, 0, 0
	s_add_u32 s40, s29, 2
	s_addc_u32 s41, 0, 0
	s_cmp_lg_u32 s33, 0
	s_cselect_b32 s33, s40, s38
	s_cselect_b32 s38, s41, s39
	s_cmp_lg_u32 s23, 0
	v_readfirstlane_b32 s23, v1
	s_subb_u32 s31, 0, s31
	s_cmp_ge_u32 s31, s35
	s_cselect_b32 s39, -1, 0
	s_cmp_ge_u32 s23, s34
	s_cselect_b32 s23, -1, 0
	s_cmp_eq_u32 s31, s35
	s_cselect_b32 s23, s23, s39
	s_cmp_lg_u32 s23, 0
	s_cselect_b32 s39, s38, 0
	s_cselect_b32 s38, s33, s29
	s_cbranch_execnz .LBB0_4
.LBB0_3:                                ;   in Loop: Header=BB0_1 Depth=1
	v_cvt_f32_u32_e32 v1, s34
	s_sub_i32 s29, 0, s34
	s_mov_b32 s39, s30
	v_rcp_iflag_f32_e32 v1, v1
	v_mul_f32_e32 v1, 0x4f7ffffe, v1
	v_cvt_u32_f32_e32 v1, v1
	v_readfirstlane_b32 s23, v1
	s_mul_i32 s29, s29, s23
	s_mul_hi_u32 s29, s23, s29
	s_add_i32 s23, s23, s29
	s_mul_hi_u32 s23, s3, s23
	s_mul_i32 s29, s23, s34
	s_add_i32 s31, s23, 1
	s_sub_i32 s29, s3, s29
	s_sub_i32 s33, s29, s34
	s_cmp_ge_u32 s29, s34
	s_cselect_b32 s23, s31, s23
	s_cselect_b32 s29, s33, s29
	s_add_i32 s31, s23, 1
	s_cmp_ge_u32 s29, s34
	s_cselect_b32 s38, s31, s23
.LBB0_4:                                ;   in Loop: Header=BB0_1 Depth=1
	s_mul_i32 s23, s38, s35
	s_mul_hi_u32 s29, s38, s34
	s_mul_i32 s31, s38, s34
	s_add_i32 s23, s29, s23
	s_mul_i32 s29, s39, s34
	s_mul_i32 s7, s7, s34
	s_add_i32 s23, s23, s29
	s_sub_u32 s3, s3, s31
	s_subb_u32 s23, 0, s23
	s_add_u32 s40, s14, s36
	s_addc_u32 s41, s15, s37
	s_load_dwordx2 s[40:41], s[40:41], 0x0
	s_waitcnt lgkmcnt(0)
	s_mul_i32 s29, s40, s23
	s_mul_hi_u32 s31, s40, s3
	s_mul_i32 s33, s41, s3
	s_add_i32 s29, s31, s29
	s_mul_i32 s31, s40, s3
	s_add_i32 s29, s29, s33
	s_add_u32 s24, s31, s24
	s_addc_u32 s25, s29, s25
	s_add_u32 s36, s26, s36
	s_addc_u32 s37, s27, s37
	s_mov_b32 s29, s30
	s_load_dwordx2 s[36:37], s[36:37], 0x0
	s_mov_b64 s[34:35], s[28:29]
	v_cmp_ge_u64_e64 s29, s[28:29], s[10:11]
	s_waitcnt lgkmcnt(0)
	s_mul_i32 s23, s36, s23
	s_mul_hi_u32 s31, s36, s3
	s_mul_i32 s33, s37, s3
	s_add_i32 s23, s31, s23
	s_mul_i32 s3, s36, s3
	s_add_i32 s23, s23, s33
	s_add_u32 s4, s3, s4
	s_addc_u32 s5, s23, s5
	s_and_b32 vcc_lo, exec_lo, s29
	s_add_i32 s28, s28, 1
	s_cbranch_vccnz .LBB0_7
; %bb.5:                                ;   in Loop: Header=BB0_1 Depth=1
	s_mov_b32 s3, s38
	s_branch .LBB0_1
.LBB0_6:                                ;   in Loop: Header=BB0_1 Depth=1
                                        ; implicit-def: $sgpr38_sgpr39
	s_branch .LBB0_3
.LBB0_7:
	v_cvt_f32_u32_e32 v1, s7
	s_sub_i32 s12, 0, s7
	v_rcp_iflag_f32_e32 v1, v1
	v_mul_f32_e32 v1, 0x4f7ffffe, v1
	v_cvt_u32_f32_e32 v1, v1
	v_readfirstlane_b32 s3, v1
	s_mul_i32 s12, s12, s3
	s_mul_hi_u32 s12, s3, s12
	s_add_i32 s3, s3, s12
	s_mul_hi_u32 s3, s6, s3
	s_mul_i32 s12, s3, s7
	s_sub_i32 s6, s6, s12
	s_add_i32 s12, s3, 1
	s_sub_i32 s13, s6, s7
	s_cmp_ge_u32 s6, s7
	s_cselect_b32 s3, s12, s3
	s_cselect_b32 s6, s13, s6
	s_add_i32 s12, s3, 1
	s_cmp_ge_u32 s6, s7
	s_cselect_b32 s3, s12, s3
.LBB0_8:
	s_lshl_b64 s[6:7], s[10:11], 3
	v_mul_u32_u24_e32 v1, 0x10e, v0
	s_add_u32 s10, s14, s6
	v_add_nc_u16 v3, v0, 0xd8
	v_mov_b32_e32 v2, 0x10e
	s_addc_u32 s11, s15, s7
	v_lshrrev_b32_e32 v44, 16, v1
	s_load_dwordx2 s[10:11], s[10:11], 0x0
	v_mov_b32_e32 v21, 0x437
	v_mul_u32_u24_sdwa v1, v3, v2 dst_sel:DWORD dst_unused:UNUSED_PAD src0_sel:WORD_0 src1_sel:DWORD
	v_add_nc_u16 v10, v0, 0x288
	v_mul_lo_u16 v2, 0xf3, v44
	v_add_nc_u16 v9, v0, 0x1b0
	v_add_nc_u16 v14, v0, 0x360
	v_lshrrev_b32_e32 v45, 16, v1
	v_mul_u32_u24_sdwa v8, v10, v21 dst_sel:DWORD dst_unused:UNUSED_PAD src0_sel:WORD_0 src1_sel:DWORD
	v_sub_nc_u16 v46, v0, v2
	v_mul_u32_u24_sdwa v1, v9, v21 dst_sel:DWORD dst_unused:UNUSED_PAD src0_sel:WORD_0 src1_sel:DWORD
	v_mov_b32_e32 v2, 0
	v_mul_lo_u16 v4, 0xf3, v45
	v_lshrrev_b32_e32 v49, 18, v8
	v_and_b32_e32 v7, 0xffff, v46
	v_lshrrev_b32_e32 v47, 18, v1
	v_mul_lo_u32 v1, s22, v44
	v_sub_nc_u16 v48, v3, v4
	v_add_nc_u16 v18, v0, 0x438
	v_mad_u64_u32 v[3:4], null, s20, v7, 0
	s_waitcnt lgkmcnt(0)
	s_mul_i32 s11, s11, s3
	s_mul_hi_u32 s12, s10, s3
	v_and_b32_e32 v11, 0xffff, v48
	s_add_i32 s11, s12, s11
	s_add_u32 s6, s26, s6
	s_addc_u32 s7, s27, s7
	v_mul_lo_u16 v12, 0xf3, v47
	s_load_dwordx2 s[6:7], s[6:7], 0x0
	v_mad_u64_u32 v[5:6], null, s20, v11, 0
	s_mul_i32 s10, s10, s3
	v_sub_nc_u16 v50, v9, v12
	s_lshl_b64 s[10:11], s[10:11], 4
	v_add_nc_u16 v28, v0, 0x6c0
	v_mad_u64_u32 v[7:8], null, s21, v7, v[4:5]
	v_and_b32_e32 v12, 0xffff, v50
	v_lshlrev_b64 v[8:9], 4, v[1:2]
	v_mul_lo_u32 v1, s22, v45
	v_mov_b32_e32 v4, v7
	v_mad_u64_u32 v[6:7], null, s21, v11, v[6:7]
	s_waitcnt lgkmcnt(0)
	s_mul_i32 s7, s7, s3
	s_mul_hi_u32 s12, s6, s3
	v_lshlrev_b64 v[3:4], 4, v[3:4]
	s_add_i32 s7, s12, s7
	s_add_u32 s12, s16, s10
	s_addc_u32 s13, s17, s11
	s_lshl_b64 s[10:11], s[24:25], 4
	v_mul_lo_u16 v7, 0xf3, v49
	s_add_u32 s10, s12, s10
	s_addc_u32 s11, s13, s11
	v_add_co_u32 v11, vcc_lo, s10, v3
	v_add_co_ci_u32_e32 v13, vcc_lo, s11, v4, vcc_lo
	v_lshlrev_b64 v[3:4], 4, v[5:6]
	v_mad_u64_u32 v[5:6], null, s20, v12, 0
	v_sub_nc_u16 v51, v10, v7
	v_add_co_u32 v7, vcc_lo, v11, v8
	v_add_co_ci_u32_e32 v8, vcc_lo, v13, v9, vcc_lo
	v_and_b32_e32 v15, 0xffff, v51
	v_lshlrev_b64 v[9:10], 4, v[1:2]
	v_add_co_u32 v13, vcc_lo, s10, v3
	v_mov_b32_e32 v1, v6
	v_mul_u32_u24_sdwa v6, v14, v21 dst_sel:DWORD dst_unused:UNUSED_PAD src0_sel:WORD_0 src1_sel:DWORD
	v_add_co_ci_u32_e32 v16, vcc_lo, s11, v4, vcc_lo
	v_mad_u64_u32 v[3:4], null, s20, v15, 0
	v_lshrrev_b32_e32 v52, 18, v6
	v_mad_u64_u32 v[11:12], null, s21, v12, v[1:2]
	v_add_co_u32 v12, vcc_lo, v13, v9
	v_add_co_ci_u32_e32 v13, vcc_lo, v16, v10, vcc_lo
	v_mov_b32_e32 v1, v4
	v_mul_lo_u16 v4, 0xf3, v52
	v_mov_b32_e32 v6, v11
	s_mov_b32 s13, 0x3febb67a
	s_lshl_b64 s[4:5], s[4:5], 4
	v_mad_u64_u32 v[16:17], null, s21, v15, v[1:2]
	v_sub_nc_u16 v53, v14, v4
	s_clause 0x1
	global_load_dwordx4 v[8:11], v[7:8], off
	global_load_dwordx4 v[12:15], v[12:13], off
	v_mul_u32_u24_sdwa v7, v18, v21 dst_sel:DWORD dst_unused:UNUSED_PAD src0_sel:WORD_0 src1_sel:DWORD
	v_mul_lo_u32 v1, s22, v47
	v_lshlrev_b64 v[5:6], 4, v[5:6]
	v_and_b32_e32 v19, 0xffff, v53
	v_mov_b32_e32 v4, v16
	v_lshrrev_b32_e32 v54, 18, v7
	s_mul_i32 s6, s6, s3
	v_mad_u64_u32 v[16:17], null, s20, v19, 0
	v_add_co_u32 v20, vcc_lo, s10, v5
	v_add_co_ci_u32_e32 v22, vcc_lo, s11, v6, vcc_lo
	v_lshlrev_b64 v[5:6], 4, v[1:2]
	v_mul_lo_u16 v23, 0xf3, v54
	v_mul_lo_u32 v1, s22, v49
	v_lshlrev_b64 v[3:4], 4, v[3:4]
	v_mov_b32_e32 v7, v17
	v_sub_nc_u16 v55, v18, v23
	v_add_co_u32 v5, vcc_lo, v20, v5
	v_add_co_ci_u32_e32 v6, vcc_lo, v22, v6, vcc_lo
	v_add_nc_u16 v22, v0, 0x510
	v_and_b32_e32 v20, 0xffff, v55
	s_waitcnt vmcnt(1)
	v_mad_u64_u32 v[17:18], null, s21, v19, v[7:8]
	v_add_co_u32 v7, vcc_lo, s10, v3
	v_add_co_ci_u32_e32 v23, vcc_lo, s11, v4, vcc_lo
	v_lshlrev_b64 v[3:4], 4, v[1:2]
	v_mul_u32_u24_sdwa v1, v22, v21 dst_sel:DWORD dst_unused:UNUSED_PAD src0_sel:WORD_0 src1_sel:DWORD
	v_mad_u64_u32 v[18:19], null, s20, v20, 0
	v_lshlrev_b64 v[16:17], 4, v[16:17]
	v_add_co_u32 v3, vcc_lo, v7, v3
	v_add_co_ci_u32_e32 v4, vcc_lo, v23, v4, vcc_lo
	v_lshrrev_b32_e32 v56, 18, v1
	v_add_nc_u16 v23, v0, 0x5e8
	v_mov_b32_e32 v7, v19
	v_mul_lo_u32 v1, s22, v52
	v_mul_lo_u16 v24, 0xf3, v56
	v_mul_u32_u24_sdwa v25, v23, v21 dst_sel:DWORD dst_unused:UNUSED_PAD src0_sel:WORD_0 src1_sel:DWORD
	v_mad_u64_u32 v[19:20], null, s21, v20, v[7:8]
	v_mul_u32_u24_sdwa v7, v28, v21 dst_sel:DWORD dst_unused:UNUSED_PAD src0_sel:WORD_0 src1_sel:DWORD
	v_sub_nc_u16 v57, v22, v24
	v_lshrrev_b32_e32 v58, 18, v25
	v_add_co_u32 v20, vcc_lo, s10, v16
	v_add_co_ci_u32_e32 v21, vcc_lo, s11, v17, vcc_lo
	v_lshlrev_b64 v[16:17], 4, v[1:2]
	v_and_b32_e32 v22, 0xffff, v57
	v_mul_lo_u16 v1, 0xf3, v58
	v_lshrrev_b32_e32 v59, 18, v7
	v_mad_u64_u32 v[24:25], null, s20, v22, 0
	v_sub_nc_u16 v60, v23, v1
	v_mul_lo_u16 v1, 0xf3, v59
	v_add_co_u32 v26, vcc_lo, v20, v16
	v_add_co_ci_u32_e32 v27, vcc_lo, v21, v17, vcc_lo
	v_sub_nc_u16 v61, v28, v1
	v_and_b32_e32 v20, 0xffff, v60
	v_mov_b32_e32 v7, v25
	v_mul_lo_u32 v1, s22, v54
	v_lshlrev_b64 v[16:17], 4, v[18:19]
	v_and_b32_e32 v35, 0xffff, v61
	v_mad_u64_u32 v[28:29], null, s20, v20, 0
	v_mad_u64_u32 v[18:19], null, s21, v22, v[7:8]
	;; [unrolled: 1-line block ×3, first 2 shown]
	v_add_co_u32 v19, vcc_lo, s10, v16
	v_add_co_ci_u32_e32 v21, vcc_lo, s11, v17, vcc_lo
	v_mov_b32_e32 v7, v29
	v_lshlrev_b64 v[16:17], 4, v[1:2]
	v_mov_b32_e32 v25, v18
	v_mul_lo_u32 v1, s22, v56
	v_mad_u64_u32 v[32:33], null, s21, v20, v[7:8]
	v_mov_b32_e32 v7, v31
	v_add_co_u32 v33, vcc_lo, v19, v16
	v_add_co_ci_u32_e32 v34, vcc_lo, v21, v17, vcc_lo
	s_clause 0x1
	global_load_dwordx4 v[16:19], v[5:6], off
	global_load_dwordx4 v[20:23], v[3:4], off
	v_lshlrev_b64 v[3:4], 4, v[24:25]
	v_mad_u64_u32 v[5:6], null, s21, v35, v[7:8]
	v_lshlrev_b64 v[6:7], 4, v[1:2]
	v_mul_lo_u32 v1, s22, v58
	v_mov_b32_e32 v29, v32
	v_add_co_u32 v24, vcc_lo, s10, v3
	v_add_co_ci_u32_e32 v25, vcc_lo, s11, v4, vcc_lo
	v_mov_b32_e32 v31, v5
	v_add_co_u32 v5, vcc_lo, v24, v6
	v_lshlrev_b64 v[3:4], 4, v[28:29]
	v_add_co_ci_u32_e32 v6, vcc_lo, v25, v7, vcc_lo
	v_lshlrev_b64 v[24:25], 4, v[1:2]
	v_mul_lo_u32 v1, s22, v59
	v_lshlrev_b64 v[28:29], 4, v[30:31]
	v_add_co_u32 v7, vcc_lo, s10, v3
	v_add_co_ci_u32_e32 v30, vcc_lo, s11, v4, vcc_lo
	v_add_co_u32 v28, vcc_lo, s10, v28
	v_lshlrev_b64 v[3:4], 4, v[1:2]
	v_add_co_ci_u32_e32 v29, vcc_lo, s11, v29, vcc_lo
	v_add_co_u32 v36, vcc_lo, v7, v24
	v_add_co_ci_u32_e32 v37, vcc_lo, v30, v25, vcc_lo
	v_add_co_u32 v3, vcc_lo, v28, v3
	v_add_co_ci_u32_e32 v4, vcc_lo, v29, v4, vcc_lo
	s_clause 0x4
	global_load_dwordx4 v[24:27], v[26:27], off
	global_load_dwordx4 v[28:31], v[33:34], off
	;; [unrolled: 1-line block ×5, first 2 shown]
	v_lshlrev_b16 v1, 3, v46
	v_lshlrev_b16 v5, 3, v48
	;; [unrolled: 1-line block ×4, first 2 shown]
	v_lshrrev_b32_e32 v6, 3, v0
	v_or_b32_e32 v1, v1, v44
	v_lshlrev_b16 v44, 3, v50
	v_and_b32_e32 v3, 7, v0
	v_lshlrev_b16 v50, 3, v55
	v_lshlrev_b16 v51, 3, v57
	v_lshlrev_b16 v53, 3, v60
	v_lshlrev_b16 v55, 3, v61
	v_or_b32_e32 v5, v5, v45
	v_or_b32_e32 v44, v44, v47
	;; [unrolled: 1-line block ×3, first 2 shown]
	v_add_nc_u16 v46, v48, v52
	v_lshlrev_b32_e32 v4, 7, v6
	v_lshlrev_b32_e32 v7, 4, v3
	v_and_b32_e32 v1, 0xffff, v1
	v_or_b32_e32 v47, v50, v54
	v_add_nc_u16 v48, v51, v56
	v_add_nc_u16 v49, v53, v58
	;; [unrolled: 1-line block ×3, first 2 shown]
	v_and_b32_e32 v5, 0xffff, v5
	v_and_b32_e32 v44, 0xffff, v44
	;; [unrolled: 1-line block ×4, first 2 shown]
	v_add3_u32 v4, 0, v4, v7
	v_lshl_add_u32 v1, v1, 4, 0
	v_and_b32_e32 v47, 0xffff, v47
	v_and_b32_e32 v48, 0xffff, v48
	;; [unrolled: 1-line block ×4, first 2 shown]
	v_lshl_add_u32 v5, v5, 4, 0
	v_lshl_add_u32 v44, v44, 4, 0
	;; [unrolled: 1-line block ×8, first 2 shown]
	s_mov_b32 s10, 0xe8584caa
	s_mov_b32 s11, 0xbfebb67a
	s_mov_b32 s12, s10
	v_cmp_gt_u32_e32 vcc_lo, 0x288, v0
	ds_write_b128 v1, v[8:11]
	s_waitcnt vmcnt(7)
	ds_write_b128 v5, v[12:15]
	s_waitcnt vmcnt(6)
	;; [unrolled: 2-line block ×8, first 2 shown]
	ds_write_b128 v50, v[40:43]
	s_waitcnt lgkmcnt(0)
	s_barrier
	buffer_gl0_inv
	ds_read_b128 v[8:11], v4 offset:10368
	ds_read_b128 v[12:15], v4
	ds_read_b128 v[16:19], v4 offset:3456
	ds_read_b128 v[20:23], v4 offset:13824
	;; [unrolled: 1-line block ×6, first 2 shown]
	v_mul_lo_u16 v1, 0x56, v6
	v_lshrrev_b16 v1, 8, v1
	v_mul_lo_u16 v5, v1, 3
	s_waitcnt lgkmcnt(6)
	v_add_f64 v[40:41], v[12:13], v[8:9]
	v_add_f64 v[42:43], v[14:15], v[10:11]
	s_waitcnt lgkmcnt(4)
	v_add_f64 v[46:47], v[18:19], v[22:23]
	s_waitcnt lgkmcnt(3)
	v_add_f64 v[48:49], v[8:9], v[24:25]
	v_add_f64 v[50:51], v[10:11], v[26:27]
	v_add_f64 v[52:53], v[10:11], -v[26:27]
	v_add_f64 v[54:55], v[8:9], -v[24:25]
	ds_read_b128 v[8:11], v4 offset:27648
	s_waitcnt lgkmcnt(3)
	v_add_f64 v[58:59], v[22:23], -v[30:31]
	v_add_f64 v[22:23], v[22:23], v[30:31]
	v_add_f64 v[56:57], v[20:21], v[28:29]
	;; [unrolled: 1-line block ×3, first 2 shown]
	v_add_f64 v[60:61], v[20:21], -v[28:29]
	s_waitcnt lgkmcnt(1)
	v_add_f64 v[20:21], v[36:37], v[32:33]
	v_sub_nc_u16 v5, v6, v5
	s_waitcnt lgkmcnt(0)
	s_barrier
	buffer_gl0_inv
	v_fma_f64 v[48:49], v[48:49], -0.5, v[12:13]
	v_fma_f64 v[50:51], v[50:51], -0.5, v[14:15]
	v_add_f64 v[12:13], v[32:33], v[8:9]
	v_add_f64 v[14:15], v[34:35], v[10:11]
	v_add_f64 v[68:69], v[34:35], -v[10:11]
	v_add_f64 v[70:71], v[32:33], -v[8:9]
	v_fma_f64 v[62:63], v[22:23], -0.5, v[18:19]
	v_add_f64 v[22:23], v[38:39], v[34:35]
	v_fma_f64 v[56:57], v[56:57], -0.5, v[16:17]
	v_add_f64 v[16:17], v[44:45], v[28:29]
	v_add_f64 v[18:19], v[46:47], v[30:31]
	;; [unrolled: 1-line block ×3, first 2 shown]
	v_fma_f64 v[28:29], v[52:53], s[12:13], v[48:49]
	v_fma_f64 v[30:31], v[54:55], s[10:11], v[50:51]
	v_fma_f64 v[64:65], v[12:13], -0.5, v[36:37]
	v_fma_f64 v[66:67], v[14:15], -0.5, v[38:39]
	v_add_f64 v[12:13], v[40:41], v[24:25]
	v_add_f64 v[14:15], v[42:43], v[26:27]
	v_fma_f64 v[24:25], v[52:53], s[10:11], v[48:49]
	v_add_f64 v[22:23], v[22:23], v[10:11]
	v_fma_f64 v[26:27], v[54:55], s[12:13], v[50:51]
	v_fma_f64 v[32:33], v[58:59], s[10:11], v[56:57]
	;; [unrolled: 1-line block ×5, first 2 shown]
	v_and_b32_e32 v11, 0xff, v5
	v_lshl_add_u32 v54, v6, 8, v4
	v_lshlrev_b32_e32 v10, 5, v11
	v_add_nc_u32_e32 v5, 0x5000, v54
	v_fma_f64 v[8:9], v[68:69], s[10:11], v[64:65]
	v_fma_f64 v[42:43], v[70:71], s[12:13], v[66:67]
	;; [unrolled: 1-line block ×4, first 2 shown]
	ds_write_b128 v54, v[12:15]
	ds_write_b128 v54, v[16:19] offset:10368
	ds_write_b128 v54, v[20:23] offset:20736
	ds_write_b128 v54, v[24:27] offset:128
	ds_write_b128 v54, v[28:31] offset:256
	ds_write_b128 v54, v[32:35] offset:10496
	ds_write_b128 v54, v[36:39] offset:10624
	ds_write2_b64 v5, v[8:9], v[42:43] offset0:48 offset1:49
	ds_write2_b64 v5, v[40:41], v[44:45] offset0:64 offset1:65
	s_waitcnt lgkmcnt(0)
	s_barrier
	buffer_gl0_inv
	s_clause 0x1
	global_load_dwordx4 v[12:15], v10, s[8:9]
	global_load_dwordx4 v[16:19], v10, s[8:9] offset:16
	v_add_nc_u32_e32 v8, 27, v6
	v_mul_lo_u16 v5, 0x56, v8
	v_lshrrev_b16 v66, 8, v5
	v_mul_lo_u16 v5, v66, 3
	v_sub_nc_u16 v5, v8, v5
	v_and_b32_e32 v67, 0xff, v5
	v_add_nc_u32_e32 v5, 54, v6
	v_lshlrev_b32_e32 v9, 5, v67
	v_mul_lo_u16 v10, 0x56, v5
	s_clause 0x1
	global_load_dwordx4 v[20:23], v9, s[8:9]
	global_load_dwordx4 v[24:27], v9, s[8:9] offset:16
	v_lshrrev_b16 v68, 8, v10
	v_mul_lo_u16 v10, v68, 3
	v_sub_nc_u16 v9, v5, v10
	v_and_b32_e32 v69, 0xff, v9
	v_lshlrev_b32_e32 v9, 5, v69
	s_clause 0x1
	global_load_dwordx4 v[28:31], v9, s[8:9]
	global_load_dwordx4 v[32:35], v9, s[8:9] offset:16
	ds_read_b128 v[36:39], v4 offset:10368
	ds_read_b128 v[40:43], v4
	ds_read_b128 v[44:47], v4 offset:20736
	ds_read_b128 v[48:51], v4 offset:24192
	s_waitcnt vmcnt(5) lgkmcnt(3)
	v_mul_f64 v[9:10], v[38:39], v[14:15]
	v_mul_f64 v[14:15], v[36:37], v[14:15]
	v_fma_f64 v[36:37], v[36:37], v[12:13], v[9:10]
	s_waitcnt vmcnt(4) lgkmcnt(1)
	v_mul_f64 v[9:10], v[46:47], v[18:19]
	v_mul_f64 v[18:19], v[44:45], v[18:19]
	v_fma_f64 v[38:39], v[38:39], v[12:13], -v[14:15]
	ds_read_b128 v[12:15], v4 offset:13824
	v_fma_f64 v[44:45], v[44:45], v[16:17], v[9:10]
	v_fma_f64 v[46:47], v[46:47], v[16:17], -v[18:19]
	ds_read_b128 v[16:19], v4 offset:17280
	s_waitcnt vmcnt(3) lgkmcnt(1)
	v_mul_f64 v[9:10], v[14:15], v[22:23]
	v_mul_f64 v[22:23], v[12:13], v[22:23]
	v_fma_f64 v[52:53], v[12:13], v[20:21], v[9:10]
	s_waitcnt vmcnt(2)
	v_mul_f64 v[9:10], v[50:51], v[26:27]
	v_mul_f64 v[12:13], v[48:49], v[26:27]
	v_fma_f64 v[20:21], v[14:15], v[20:21], -v[22:23]
	s_waitcnt vmcnt(1) lgkmcnt(0)
	v_mul_f64 v[22:23], v[18:19], v[30:31]
	v_mul_f64 v[26:27], v[16:17], v[30:31]
	v_fma_f64 v[30:31], v[48:49], v[24:25], v[9:10]
	v_fma_f64 v[24:25], v[50:51], v[24:25], -v[12:13]
	ds_read_b128 v[12:15], v4 offset:27648
	v_lshlrev_b32_e32 v9, 8, v8
	v_add_nc_u32_e32 v10, 0x2880, v54
	v_fma_f64 v[22:23], v[16:17], v[28:29], v[22:23]
	v_fma_f64 v[26:27], v[18:19], v[28:29], -v[26:27]
	v_add_nc_u32_e32 v50, 0x5100, v54
	v_sub_nc_u32_e32 v10, v10, v9
	v_lshlrev_b32_e32 v9, 8, v5
	ds_read_b128 v[16:19], v10
	v_sub_nc_u32_e32 v9, v50, v9
	v_add_f64 v[50:51], v[40:41], v[36:37]
	s_waitcnt vmcnt(0) lgkmcnt(1)
	v_mul_f64 v[28:29], v[14:15], v[34:35]
	v_mul_f64 v[34:35], v[12:13], v[34:35]
	v_add_f64 v[48:49], v[20:21], v[24:25]
	s_waitcnt lgkmcnt(0)
	v_add_f64 v[56:57], v[16:17], v[52:53]
	v_fma_f64 v[28:29], v[12:13], v[32:33], v[28:29]
	v_fma_f64 v[32:33], v[14:15], v[32:33], -v[34:35]
	v_add_f64 v[34:35], v[52:53], v[30:31]
	v_add_f64 v[12:13], v[36:37], v[44:45]
	;; [unrolled: 1-line block ×3, first 2 shown]
	v_fma_f64 v[48:49], v[48:49], -0.5, v[18:19]
	v_add_f64 v[36:37], v[36:37], -v[44:45]
	v_fma_f64 v[58:59], v[34:35], -0.5, v[16:17]
	v_add_f64 v[34:35], v[22:23], v[28:29]
	v_fma_f64 v[40:41], v[12:13], -0.5, v[40:41]
	v_fma_f64 v[54:55], v[14:15], -0.5, v[42:43]
	ds_read2_b64 v[12:15], v9 offset1:1
	v_add_f64 v[42:43], v[42:43], v[38:39]
	v_add_f64 v[17:18], v[18:19], v[20:21]
	v_add_f64 v[38:39], v[38:39], -v[46:47]
	s_waitcnt lgkmcnt(0)
	s_barrier
	buffer_gl0_inv
	v_fma_f64 v[60:61], v[34:35], -0.5, v[12:13]
	v_add_f64 v[34:35], v[26:27], v[32:33]
	v_add_f64 v[64:65], v[12:13], v[22:23]
	v_mul_lo_u16 v12, v6, 29
	v_lshrrev_b16 v12, 8, v12
	v_fma_f64 v[62:63], v[34:35], -0.5, v[14:15]
	v_add_f64 v[34:35], v[14:15], v[26:27]
	v_add_f64 v[15:16], v[42:43], v[46:47]
	;; [unrolled: 1-line block ×3, first 2 shown]
	v_add_f64 v[42:43], v[20:21], -v[24:25]
	v_add_f64 v[44:45], v[52:53], -v[30:31]
	v_add_f64 v[46:47], v[26:27], -v[32:33]
	v_add_f64 v[50:51], v[22:23], -v[28:29]
	v_mov_b32_e32 v21, 9
	v_mul_lo_u16 v22, v12, 9
	v_add_f64 v[19:20], v[17:18], v[24:25]
	v_add_f64 v[17:18], v[56:57], v[30:31]
	v_fma_f64 v[25:26], v[38:39], s[10:11], v[40:41]
	v_mul_u32_u24_sdwa v1, v1, v21 dst_sel:DWORD dst_unused:UNUSED_PAD src0_sel:WORD_0 src1_sel:DWORD
	v_mul_u32_u24_sdwa v52, v66, v21 dst_sel:DWORD dst_unused:UNUSED_PAD src0_sel:WORD_0 src1_sel:DWORD
	;; [unrolled: 1-line block ×3, first 2 shown]
	v_sub_nc_u16 v56, v6, v22
	v_add_f64 v[21:22], v[64:65], v[28:29]
	v_fma_f64 v[27:28], v[36:37], s[12:13], v[54:55]
	v_fma_f64 v[29:30], v[38:39], s[12:13], v[40:41]
	v_add_lshl_u32 v1, v1, v11, 7
	v_and_b32_e32 v68, 0xff, v56
	v_add_lshl_u32 v11, v52, v67, 7
	v_add_f64 v[23:24], v[34:35], v[32:33]
	v_fma_f64 v[31:32], v[36:37], s[10:11], v[54:55]
	v_add3_u32 v1, 0, v1, v7
	v_fma_f64 v[33:34], v[42:43], s[10:11], v[58:59]
	v_fma_f64 v[35:36], v[44:45], s[12:13], v[48:49]
	;; [unrolled: 1-line block ×8, first 2 shown]
	v_add_lshl_u32 v49, v53, v69, 7
	v_lshlrev_b32_e32 v50, 5, v68
	v_add3_u32 v11, 0, v11, v7
	v_add3_u32 v49, 0, v49, v7
	ds_write_b128 v1, v[13:16]
	ds_write_b128 v1, v[25:28] offset:384
	ds_write_b128 v1, v[29:32] offset:768
	ds_write_b128 v11, v[17:20]
	ds_write_b128 v11, v[33:36] offset:384
	ds_write_b128 v11, v[37:40] offset:768
	;; [unrolled: 3-line block ×3, first 2 shown]
	s_waitcnt lgkmcnt(0)
	s_barrier
	buffer_gl0_inv
	global_load_dwordx4 v[13:16], v50, s[8:9] offset:96
	v_mul_lo_u16 v1, v8, 57
	global_load_dwordx4 v[17:20], v50, s[8:9] offset:112
	v_mul_lo_u16 v38, v5, 57
	v_lshrrev_b16 v1, 9, v1
	v_lshrrev_b16 v67, 9, v38
	v_mul_lo_u16 v11, v1, 9
	v_mul_lo_u16 v51, v67, 9
	v_sub_nc_u16 v11, v8, v11
	v_and_b32_e32 v11, 0xff, v11
	v_lshlrev_b32_e32 v37, 5, v11
	global_load_dwordx4 v[21:24], v37, s[8:9] offset:96
	ds_read_b128 v[25:28], v4 offset:10368
	ds_read_b128 v[29:32], v4 offset:20736
	ds_read_b128 v[33:36], v4
	global_load_dwordx4 v[37:40], v37, s[8:9] offset:112
	ds_read_b128 v[41:44], v4 offset:24192
	s_waitcnt vmcnt(3) lgkmcnt(3)
	v_mul_f64 v[45:46], v[27:28], v[15:16]
	v_mul_f64 v[15:16], v[25:26], v[15:16]
	s_waitcnt vmcnt(2) lgkmcnt(2)
	v_mul_f64 v[47:48], v[31:32], v[19:20]
	v_mul_f64 v[19:20], v[29:30], v[19:20]
	v_fma_f64 v[45:46], v[25:26], v[13:14], v[45:46]
	v_fma_f64 v[49:50], v[27:28], v[13:14], -v[15:16]
	ds_read_b128 v[13:16], v4 offset:13824
	v_sub_nc_u16 v25, v5, v51
	v_fma_f64 v[29:30], v[29:30], v[17:18], v[47:48]
	v_fma_f64 v[31:32], v[31:32], v[17:18], -v[19:20]
	ds_read_b128 v[17:20], v4 offset:17280
	v_and_b32_e32 v69, 0xff, v25
	v_lshlrev_b32_e32 v53, 5, v69
	global_load_dwordx4 v[25:28], v53, s[8:9] offset:96
	s_waitcnt vmcnt(2) lgkmcnt(1)
	v_mul_f64 v[47:48], v[15:16], v[23:24]
	v_mul_f64 v[23:24], v[13:14], v[23:24]
	v_fma_f64 v[47:48], v[13:14], v[21:22], v[47:48]
	v_fma_f64 v[51:52], v[15:16], v[21:22], -v[23:24]
	global_load_dwordx4 v[13:16], v53, s[8:9] offset:112
	s_waitcnt vmcnt(2)
	v_mul_f64 v[21:22], v[43:44], v[39:40]
	v_mul_f64 v[23:24], v[41:42], v[39:40]
	v_add_f64 v[53:54], v[33:34], v[45:46]
	v_fma_f64 v[41:42], v[41:42], v[37:38], v[21:22]
	v_fma_f64 v[37:38], v[43:44], v[37:38], -v[23:24]
	ds_read_b128 v[21:24], v4 offset:27648
	v_add_f64 v[43:44], v[51:52], v[37:38]
	s_waitcnt vmcnt(1) lgkmcnt(1)
	v_mul_f64 v[39:40], v[19:20], v[27:28]
	v_mul_f64 v[27:28], v[17:18], v[27:28]
	v_fma_f64 v[39:40], v[17:18], v[25:26], v[39:40]
	v_fma_f64 v[25:26], v[19:20], v[25:26], -v[27:28]
	ds_read_b128 v[17:20], v10
	s_waitcnt vmcnt(0) lgkmcnt(1)
	v_mul_f64 v[27:28], v[23:24], v[15:16]
	v_mul_f64 v[15:16], v[21:22], v[15:16]
	s_waitcnt lgkmcnt(0)
	v_add_f64 v[57:58], v[17:18], v[47:48]
	v_fma_f64 v[43:44], v[43:44], -0.5, v[19:20]
	v_fma_f64 v[21:22], v[21:22], v[13:14], v[27:28]
	v_add_f64 v[27:28], v[47:48], v[41:42]
	v_fma_f64 v[23:24], v[23:24], v[13:14], -v[15:16]
	v_add_f64 v[13:14], v[45:46], v[29:30]
	v_add_f64 v[15:16], v[49:50], v[31:32]
	v_fma_f64 v[59:60], v[27:28], -0.5, v[17:18]
	v_add_f64 v[17:18], v[19:20], v[51:52]
	v_add_f64 v[19:20], v[39:40], v[21:22]
	v_fma_f64 v[33:34], v[13:14], -0.5, v[33:34]
	v_fma_f64 v[55:56], v[15:16], -0.5, v[35:36]
	ds_read2_b64 v[13:16], v9 offset1:1
	v_add_f64 v[35:36], v[35:36], v[49:50]
	v_add_f64 v[49:50], v[49:50], -v[31:32]
	s_waitcnt lgkmcnt(0)
	s_barrier
	buffer_gl0_inv
	v_fma_f64 v[61:62], v[19:20], -0.5, v[13:14]
	v_add_f64 v[19:20], v[25:26], v[23:24]
	v_add_f64 v[27:28], v[15:16], v[25:26]
	;; [unrolled: 1-line block ×4, first 2 shown]
	v_fma_f64 v[63:64], v[19:20], -0.5, v[15:16]
	v_add_f64 v[15:16], v[35:36], v[31:32]
	v_add_f64 v[31:32], v[45:46], -v[29:30]
	v_add_f64 v[35:36], v[51:52], -v[37:38]
	v_add_f64 v[19:20], v[17:18], v[37:38]
	v_add_f64 v[17:18], v[57:58], v[41:42]
	v_add_f64 v[41:42], v[47:48], -v[41:42]
	v_add_f64 v[45:46], v[25:26], -v[23:24]
	;; [unrolled: 1-line block ×3, first 2 shown]
	v_mul_lo_u16 v29, v6, 19
	v_mov_b32_e32 v25, 27
	v_add_f64 v[23:24], v[27:28], v[23:24]
	v_add_f64 v[21:22], v[65:66], v[21:22]
	v_lshrrev_b16 v70, 9, v29
	v_mul_u32_u24_sdwa v12, v12, v25 dst_sel:DWORD dst_unused:UNUSED_PAD src0_sel:WORD_0 src1_sel:DWORD
	v_mul_u32_u24_sdwa v1, v1, v25 dst_sel:DWORD dst_unused:UNUSED_PAD src0_sel:WORD_0 src1_sel:DWORD
	;; [unrolled: 1-line block ×3, first 2 shown]
	v_fma_f64 v[29:30], v[49:50], s[12:13], v[33:34]
	v_mul_lo_u16 v26, v70, 27
	v_add_lshl_u32 v12, v12, v68, 7
	v_add_lshl_u32 v1, v1, v11, 7
	v_add_lshl_u32 v11, v51, v69, 7
	v_sub_nc_u16 v52, v6, v26
	v_fma_f64 v[25:26], v[49:50], s[10:11], v[33:34]
	v_fma_f64 v[27:28], v[31:32], s[12:13], v[55:56]
	;; [unrolled: 1-line block ×11, first 2 shown]
	v_and_b32_e32 v59, 0xff, v52
	v_add3_u32 v12, 0, v12, v7
	v_add3_u32 v1, 0, v1, v7
	;; [unrolled: 1-line block ×3, first 2 shown]
	ds_write_b128 v12, v[13:16]
	ds_write_b128 v12, v[25:28] offset:1152
	ds_write_b128 v12, v[29:32] offset:2304
	ds_write_b128 v1, v[17:20]
	ds_write_b128 v1, v[33:36] offset:1152
	ds_write_b128 v1, v[37:40] offset:2304
	ds_write_b128 v11, v[21:24]
	ds_write_b128 v11, v[41:44] offset:1152
	ds_write_b128 v11, v[45:48] offset:2304
	v_lshlrev_b32_e32 v49, 5, v59
	s_waitcnt lgkmcnt(0)
	s_barrier
	buffer_gl0_inv
	v_mul_lo_u16 v1, v8, 19
	s_clause 0x1
	global_load_dwordx4 v[11:14], v49, s[8:9] offset:384
	global_load_dwordx4 v[15:18], v49, s[8:9] offset:400
	v_mul_lo_u16 v36, v5, 19
	v_lshrrev_b16 v1, 9, v1
	v_lshrrev_b16 v61, 9, v36
	v_mul_lo_u16 v19, v1, 27
	v_sub_nc_u16 v19, v8, v19
	v_and_b32_e32 v60, 0xff, v19
	v_lshlrev_b32_e32 v35, 5, v60
	global_load_dwordx4 v[19:22], v35, s[8:9] offset:384
	ds_read_b128 v[23:26], v4 offset:10368
	ds_read_b128 v[27:30], v4 offset:20736
	ds_read_b128 v[31:34], v4
	v_mul_lo_u16 v49, v61, 27
	global_load_dwordx4 v[35:38], v35, s[8:9] offset:400
	ds_read_b128 v[39:42], v4 offset:24192
	s_waitcnt vmcnt(3) lgkmcnt(3)
	v_mul_f64 v[43:44], v[25:26], v[13:14]
	v_mul_f64 v[13:14], v[23:24], v[13:14]
	s_waitcnt vmcnt(2) lgkmcnt(2)
	v_mul_f64 v[45:46], v[29:30], v[17:18]
	v_mul_f64 v[17:18], v[27:28], v[17:18]
	v_fma_f64 v[43:44], v[23:24], v[11:12], v[43:44]
	v_fma_f64 v[47:48], v[25:26], v[11:12], -v[13:14]
	ds_read_b128 v[11:14], v4 offset:13824
	v_sub_nc_u16 v23, v5, v49
	v_fma_f64 v[27:28], v[27:28], v[15:16], v[45:46]
	v_fma_f64 v[29:30], v[29:30], v[15:16], -v[17:18]
	ds_read_b128 v[15:18], v4 offset:17280
	v_and_b32_e32 v63, 0xff, v23
	v_lshlrev_b32_e32 v51, 5, v63
	global_load_dwordx4 v[23:26], v51, s[8:9] offset:384
	s_waitcnt vmcnt(2) lgkmcnt(1)
	v_mul_f64 v[45:46], v[13:14], v[21:22]
	v_mul_f64 v[21:22], v[11:12], v[21:22]
	v_fma_f64 v[45:46], v[11:12], v[19:20], v[45:46]
	v_fma_f64 v[49:50], v[13:14], v[19:20], -v[21:22]
	global_load_dwordx4 v[11:14], v51, s[8:9] offset:400
	s_waitcnt vmcnt(2)
	v_mul_f64 v[19:20], v[41:42], v[37:38]
	v_mul_f64 v[21:22], v[39:40], v[37:38]
	v_add_f64 v[51:52], v[33:34], v[47:48]
	v_fma_f64 v[39:40], v[39:40], v[35:36], v[19:20]
	v_fma_f64 v[35:36], v[41:42], v[35:36], -v[21:22]
	ds_read_b128 v[19:22], v4 offset:27648
	v_add_f64 v[41:42], v[49:50], v[35:36]
	s_waitcnt vmcnt(1) lgkmcnt(1)
	v_mul_f64 v[37:38], v[17:18], v[25:26]
	v_mul_f64 v[25:26], v[15:16], v[25:26]
	v_fma_f64 v[37:38], v[15:16], v[23:24], v[37:38]
	v_fma_f64 v[23:24], v[17:18], v[23:24], -v[25:26]
	ds_read_b128 v[15:18], v10
	s_waitcnt vmcnt(0) lgkmcnt(1)
	v_mul_f64 v[25:26], v[21:22], v[13:14]
	v_mul_f64 v[13:14], v[19:20], v[13:14]
	s_waitcnt lgkmcnt(0)
	v_fma_f64 v[41:42], v[41:42], -0.5, v[17:18]
	v_fma_f64 v[19:20], v[19:20], v[11:12], v[25:26]
	v_fma_f64 v[21:22], v[21:22], v[11:12], -v[13:14]
	v_add_f64 v[11:12], v[43:44], v[27:28]
	v_add_f64 v[25:26], v[45:46], v[39:40]
	;; [unrolled: 1-line block ×3, first 2 shown]
	v_add_f64 v[47:48], v[47:48], -v[29:30]
	v_add_f64 v[57:58], v[37:38], v[19:20]
	v_fma_f64 v[53:54], v[11:12], -0.5, v[31:32]
	v_add_f64 v[11:12], v[31:32], v[43:44]
	v_add_f64 v[31:32], v[15:16], v[45:46]
	v_fma_f64 v[55:56], v[25:26], -0.5, v[15:16]
	v_add_f64 v[25:26], v[17:18], v[49:50]
	ds_read2_b64 v[15:18], v9 offset1:1
	v_add_f64 v[43:44], v[43:44], -v[27:28]
	v_fma_f64 v[33:34], v[13:14], -0.5, v[33:34]
	v_add_f64 v[13:14], v[51:52], v[29:30]
	v_add_f64 v[49:50], v[49:50], -v[35:36]
	v_add_f64 v[45:46], v[45:46], -v[39:40]
	s_waitcnt lgkmcnt(0)
	s_barrier
	buffer_gl0_inv
	v_add_f64 v[11:12], v[11:12], v[27:28]
	v_add_f64 v[27:28], v[23:24], v[21:22]
	v_fma_f64 v[51:52], v[57:58], -0.5, v[15:16]
	v_add_f64 v[29:30], v[15:16], v[37:38]
	v_mov_b32_e32 v15, 0x51
	v_mul_u32_u24_sdwa v16, v70, v15 dst_sel:DWORD dst_unused:UNUSED_PAD src0_sel:WORD_0 src1_sel:DWORD
	v_mul_u32_u24_sdwa v1, v1, v15 dst_sel:DWORD dst_unused:UNUSED_PAD src0_sel:WORD_0 src1_sel:DWORD
	;; [unrolled: 1-line block ×3, first 2 shown]
	v_add_f64 v[61:62], v[37:38], -v[19:20]
	v_fma_f64 v[37:38], v[45:46], s[10:11], v[41:42]
	v_add_lshl_u32 v65, v16, v59, 7
	v_add_lshl_u32 v66, v1, v60, 7
	v_add_f64 v[59:60], v[23:24], -v[21:22]
	v_add_nc_u32_e32 v1, 0xffffffaf, v6
	v_add_f64 v[15:16], v[31:32], v[39:40]
	v_fma_f64 v[31:32], v[49:50], s[10:11], v[55:56]
	v_cndmask_b32_e32 v67, v1, v6, vcc_lo
	v_fma_f64 v[57:58], v[27:28], -0.5, v[17:18]
	v_add_f64 v[27:28], v[17:18], v[23:24]
	v_add_f64 v[17:18], v[25:26], v[35:36]
	v_fma_f64 v[23:24], v[47:48], s[10:11], v[53:54]
	v_fma_f64 v[25:26], v[43:44], s[12:13], v[33:34]
	v_add_f64 v[19:20], v[29:30], v[19:20]
	v_fma_f64 v[29:30], v[43:44], s[10:11], v[33:34]
	v_lshlrev_b32_e32 v1, 1, v67
	v_fma_f64 v[33:34], v[45:46], s[12:13], v[41:42]
	v_fma_f64 v[35:36], v[49:50], s[12:13], v[55:56]
	v_add_lshl_u32 v49, v64, v63, 7
	v_add3_u32 v50, 0, v66, v7
	v_fma_f64 v[39:40], v[59:60], s[10:11], v[51:52]
	v_fma_f64 v[43:44], v[59:60], s[12:13], v[51:52]
	;; [unrolled: 1-line block ×3, first 2 shown]
	v_add_f64 v[21:22], v[27:28], v[21:22]
	v_fma_f64 v[27:28], v[47:48], s[12:13], v[53:54]
	v_fma_f64 v[45:46], v[61:62], s[10:11], v[57:58]
	v_lshlrev_b64 v[47:48], 4, v[1:2]
	v_add3_u32 v1, 0, v65, v7
	v_add3_u32 v7, 0, v49, v7
	ds_write_b128 v1, v[11:14]
	ds_write_b128 v1, v[23:26] offset:3456
	ds_write_b128 v1, v[27:30] offset:6912
	ds_write_b128 v50, v[15:18]
	ds_write_b128 v50, v[31:34] offset:3456
	ds_write_b128 v50, v[35:38] offset:6912
	;; [unrolled: 3-line block ×3, first 2 shown]
	v_add_co_u32 v47, vcc_lo, s8, v47
	v_add_co_ci_u32_e32 v48, vcc_lo, s9, v48, vcc_lo
	s_waitcnt lgkmcnt(0)
	s_barrier
	buffer_gl0_inv
	global_load_dwordx4 v[11:14], v[47:48], off offset:1248
	v_subrev_nc_u32_e32 v1, 54, v6
	v_cmp_gt_u32_e32 vcc_lo, 0x1b0, v0
	global_load_dwordx4 v[15:18], v[47:48], off offset:1264
	v_cndmask_b32_e32 v1, v1, v8, vcc_lo
	v_lshlrev_b32_e32 v1, 1, v1
	v_lshlrev_b64 v[6:7], 4, v[1:2]
	v_mul_lo_u16 v1, v5, 51
	v_add_co_u32 v23, vcc_lo, s8, v6
	v_add_co_ci_u32_e32 v24, vcc_lo, s9, v7, vcc_lo
	v_lshrrev_b16 v6, 12, v1
	v_cmp_lt_u32_e32 vcc_lo, 0x1af, v0
	s_clause 0x1
	global_load_dwordx4 v[19:22], v[23:24], off offset:1248
	global_load_dwordx4 v[23:26], v[23:24], off offset:1264
	v_mul_lo_u16 v1, 0x51, v6
	v_cndmask_b32_e64 v7, 0, 0xa2, vcc_lo
	v_cmp_lt_u32_e32 vcc_lo, 0x287, v0
	v_sub_nc_u16 v1, v5, v1
	v_cndmask_b32_e64 v0, 0, 0xf3, vcc_lo
	v_lshlrev_b16 v1, 1, v1
	v_add_nc_u32_e32 v0, v67, v0
	v_and_b32_e32 v1, 0xfe, v1
	v_lshlrev_b32_e32 v1, 4, v1
	s_clause 0x1
	global_load_dwordx4 v[27:30], v1, s[8:9] offset:1248
	global_load_dwordx4 v[31:34], v1, s[8:9] offset:1264
	ds_read_b128 v[35:38], v4 offset:10368
	ds_read_b128 v[39:42], v4
	ds_read_b128 v[43:46], v4 offset:20736
	ds_read_b128 v[47:50], v4 offset:24192
	s_waitcnt vmcnt(5) lgkmcnt(3)
	v_mul_f64 v[51:52], v[37:38], v[13:14]
	v_mul_f64 v[13:14], v[35:36], v[13:14]
	s_waitcnt vmcnt(4) lgkmcnt(1)
	v_mul_f64 v[53:54], v[45:46], v[17:18]
	v_mul_f64 v[17:18], v[43:44], v[17:18]
	v_fma_f64 v[51:52], v[35:36], v[11:12], v[51:52]
	v_fma_f64 v[55:56], v[37:38], v[11:12], -v[13:14]
	ds_read_b128 v[11:14], v4 offset:13824
	ds_read_b128 v[35:38], v4 offset:17280
	v_fma_f64 v[43:44], v[43:44], v[15:16], v[53:54]
	v_fma_f64 v[45:46], v[45:46], v[15:16], -v[17:18]
	s_waitcnt vmcnt(3) lgkmcnt(1)
	v_mul_f64 v[15:16], v[13:14], v[21:22]
	v_mul_f64 v[17:18], v[11:12], v[21:22]
	v_mad_u64_u32 v[21:22], null, s0, v3, 0
	s_mul_i32 s0, s2, 0x51
	v_mov_b32_e32 v1, v22
	v_mad_u64_u32 v[53:54], null, s1, v3, v[1:2]
	v_add_nc_u32_e32 v54, v7, v8
	v_mul_lo_u32 v1, v0, s2
	s_waitcnt vmcnt(1) lgkmcnt(0)
	v_mul_f64 v[7:8], v[35:36], v[29:30]
	s_add_u32 s1, s18, s4
	s_addc_u32 s3, s19, s5
	v_fma_f64 v[57:58], v[11:12], v[19:20], v[15:16]
	v_mul_f64 v[15:16], v[49:50], v[25:26]
	v_fma_f64 v[19:20], v[13:14], v[19:20], -v[17:18]
	v_mul_f64 v[17:18], v[47:48], v[25:26]
	ds_read_b128 v[11:14], v4 offset:27648
	v_mul_f64 v[3:4], v[37:38], v[29:30]
	v_mov_b32_e32 v22, v53
	s_lshl_b64 s[4:5], s[6:7], 4
	v_lshlrev_b64 v[25:26], 4, v[1:2]
	s_add_u32 s1, s4, s1
	v_add_nc_u32_e32 v1, s0, v1
	v_lshlrev_b64 v[21:22], 4, v[21:22]
	s_addc_u32 s3, s5, s3
	v_and_b32_e32 v0, 0xffff, v6
	v_add_co_u32 v71, vcc_lo, s1, v21
	v_add_co_ci_u32_e32 v72, vcc_lo, s3, v22, vcc_lo
	v_lshlrev_b64 v[21:22], 4, v[1:2]
	v_add_nc_u32_e32 v1, s0, v1
	v_fma_f64 v[29:30], v[47:48], v[23:24], v[15:16]
	s_waitcnt vmcnt(0) lgkmcnt(0)
	v_mul_f64 v[47:48], v[13:14], v[33:34]
	v_fma_f64 v[23:24], v[49:50], v[23:24], -v[17:18]
	v_mul_f64 v[33:34], v[11:12], v[33:34]
	v_add_co_u32 v49, vcc_lo, v71, v25
	v_add_co_ci_u32_e32 v50, vcc_lo, v72, v26, vcc_lo
	v_add_f64 v[25:26], v[51:52], v[43:44]
	v_fma_f64 v[3:4], v[35:36], v[27:28], v[3:4]
	v_lshlrev_b64 v[35:36], 4, v[1:2]
	v_add_co_u32 v53, vcc_lo, v71, v21
	v_mul_lo_u32 v1, v54, s2
	v_add_co_ci_u32_e32 v54, vcc_lo, v72, v22, vcc_lo
	ds_read_b128 v[15:18], v10
	v_fma_f64 v[7:8], v[37:38], v[27:28], -v[7:8]
	v_add_f64 v[27:28], v[55:56], v[45:46]
	v_add_f64 v[37:38], v[39:40], v[51:52]
	v_mad_u32_u24 v0, 0xa2, v0, v5
	v_fma_f64 v[21:22], v[11:12], v[31:32], v[47:48]
	v_add_f64 v[10:11], v[57:58], v[29:30]
	v_fma_f64 v[31:32], v[13:14], v[31:32], -v[33:34]
	v_add_f64 v[12:13], v[19:20], v[23:24]
	v_add_co_u32 v47, vcc_lo, v71, v35
	v_add_co_ci_u32_e32 v48, vcc_lo, v72, v36, vcc_lo
	v_add_f64 v[35:36], v[41:42], v[55:56]
	v_lshlrev_b64 v[33:34], 4, v[1:2]
	v_add_nc_u32_e32 v1, s0, v1
	v_fma_f64 v[25:26], v[25:26], -0.5, v[39:40]
	s_waitcnt lgkmcnt(0)
	v_add_f64 v[63:64], v[17:18], v[19:20]
	v_lshlrev_b64 v[39:40], 4, v[1:2]
	v_add_co_u32 v59, vcc_lo, v71, v33
	v_add_co_ci_u32_e32 v60, vcc_lo, v72, v34, vcc_lo
	v_fma_f64 v[27:28], v[27:28], -0.5, v[41:42]
	v_add_co_u32 v61, vcc_lo, v71, v39
	v_add_f64 v[65:66], v[3:4], v[21:22]
	v_add_co_ci_u32_e32 v62, vcc_lo, v72, v40, vcc_lo
	v_add_f64 v[33:34], v[55:56], -v[45:46]
	v_add_f64 v[39:40], v[15:16], v[57:58]
	v_fma_f64 v[41:42], v[10:11], -0.5, v[15:16]
	v_fma_f64 v[55:56], v[12:13], -0.5, v[17:18]
	ds_read2_b64 v[14:17], v9 offset1:1
	v_add_f64 v[12:13], v[35:36], v[45:46]
	v_add_f64 v[35:36], v[7:8], v[31:32]
	;; [unrolled: 1-line block ×3, first 2 shown]
	v_add_f64 v[37:38], v[51:52], -v[43:44]
	v_add_f64 v[51:52], v[19:20], -v[23:24]
	;; [unrolled: 1-line block ×3, first 2 shown]
	v_add_nc_u32_e32 v1, s0, v1
	v_add_f64 v[5:6], v[63:64], v[23:24]
	v_fma_f64 v[18:19], v[33:34], s[10:11], v[25:26]
	s_waitcnt lgkmcnt(0)
	v_fma_f64 v[43:44], v[65:66], -0.5, v[14:15]
	v_add_f64 v[14:15], v[14:15], v[3:4]
	v_add_f64 v[65:66], v[3:4], -v[21:22]
	v_add_f64 v[3:4], v[39:40], v[29:30]
	v_fma_f64 v[45:46], v[35:36], -0.5, v[16:17]
	v_add_f64 v[16:17], v[16:17], v[7:8]
	v_add_f64 v[7:8], v[7:8], -v[31:32]
	v_lshlrev_b64 v[35:36], 4, v[1:2]
	v_mul_lo_u32 v1, v0, s2
	v_add_co_u32 v67, vcc_lo, v71, v35
	v_add_co_ci_u32_e32 v68, vcc_lo, v72, v36, vcc_lo
	v_lshlrev_b64 v[63:64], 4, v[1:2]
	v_add_nc_u32_e32 v1, s0, v1
	v_add_f64 v[14:15], v[14:15], v[21:22]
	v_fma_f64 v[20:21], v[37:38], s[12:13], v[27:28]
	v_fma_f64 v[22:23], v[33:34], s[12:13], v[25:26]
	;; [unrolled: 1-line block ×5, first 2 shown]
	v_add_f64 v[16:17], v[16:17], v[31:32]
	v_fma_f64 v[30:31], v[51:52], s[12:13], v[41:42]
	v_fma_f64 v[32:33], v[57:58], s[10:11], v[55:56]
	;; [unrolled: 1-line block ×6, first 2 shown]
	v_lshlrev_b64 v[69:70], 4, v[1:2]
	v_add_nc_u32_e32 v1, s0, v1
	v_add_co_u32 v7, vcc_lo, v71, v63
	v_add_co_ci_u32_e32 v8, vcc_lo, v72, v64, vcc_lo
	v_lshlrev_b64 v[0:1], 4, v[1:2]
	v_add_co_u32 v42, vcc_lo, v71, v69
	v_add_co_ci_u32_e32 v43, vcc_lo, v72, v70, vcc_lo
	v_add_co_u32 v0, vcc_lo, v71, v0
	v_add_co_ci_u32_e32 v1, vcc_lo, v72, v1, vcc_lo
	global_store_dwordx4 v[49:50], v[10:13], off
	global_store_dwordx4 v[53:54], v[18:21], off
	;; [unrolled: 1-line block ×9, first 2 shown]
	s_endpgm
	.section	.rodata,"a",@progbits
	.p2align	6, 0x0
	.amdhsa_kernel fft_rtc_back_len243_factors_3_3_3_3_3_wgs_216_tpt_27_dp_op_CI_CI_sbrc_aligned_dirReg
		.amdhsa_group_segment_fixed_size 0
		.amdhsa_private_segment_fixed_size 0
		.amdhsa_kernarg_size 104
		.amdhsa_user_sgpr_count 6
		.amdhsa_user_sgpr_private_segment_buffer 1
		.amdhsa_user_sgpr_dispatch_ptr 0
		.amdhsa_user_sgpr_queue_ptr 0
		.amdhsa_user_sgpr_kernarg_segment_ptr 1
		.amdhsa_user_sgpr_dispatch_id 0
		.amdhsa_user_sgpr_flat_scratch_init 0
		.amdhsa_user_sgpr_private_segment_size 0
		.amdhsa_wavefront_size32 1
		.amdhsa_uses_dynamic_stack 0
		.amdhsa_system_sgpr_private_segment_wavefront_offset 0
		.amdhsa_system_sgpr_workgroup_id_x 1
		.amdhsa_system_sgpr_workgroup_id_y 0
		.amdhsa_system_sgpr_workgroup_id_z 0
		.amdhsa_system_sgpr_workgroup_info 0
		.amdhsa_system_vgpr_workitem_id 0
		.amdhsa_next_free_vgpr 73
		.amdhsa_next_free_sgpr 44
		.amdhsa_reserve_vcc 1
		.amdhsa_reserve_flat_scratch 0
		.amdhsa_float_round_mode_32 0
		.amdhsa_float_round_mode_16_64 0
		.amdhsa_float_denorm_mode_32 3
		.amdhsa_float_denorm_mode_16_64 3
		.amdhsa_dx10_clamp 1
		.amdhsa_ieee_mode 1
		.amdhsa_fp16_overflow 0
		.amdhsa_workgroup_processor_mode 1
		.amdhsa_memory_ordered 1
		.amdhsa_forward_progress 0
		.amdhsa_shared_vgpr_count 0
		.amdhsa_exception_fp_ieee_invalid_op 0
		.amdhsa_exception_fp_denorm_src 0
		.amdhsa_exception_fp_ieee_div_zero 0
		.amdhsa_exception_fp_ieee_overflow 0
		.amdhsa_exception_fp_ieee_underflow 0
		.amdhsa_exception_fp_ieee_inexact 0
		.amdhsa_exception_int_div_zero 0
	.end_amdhsa_kernel
	.text
.Lfunc_end0:
	.size	fft_rtc_back_len243_factors_3_3_3_3_3_wgs_216_tpt_27_dp_op_CI_CI_sbrc_aligned_dirReg, .Lfunc_end0-fft_rtc_back_len243_factors_3_3_3_3_3_wgs_216_tpt_27_dp_op_CI_CI_sbrc_aligned_dirReg
                                        ; -- End function
	.section	.AMDGPU.csdata,"",@progbits
; Kernel info:
; codeLenInByte = 7652
; NumSgprs: 46
; NumVgprs: 73
; ScratchSize: 0
; MemoryBound: 0
; FloatMode: 240
; IeeeMode: 1
; LDSByteSize: 0 bytes/workgroup (compile time only)
; SGPRBlocks: 5
; VGPRBlocks: 9
; NumSGPRsForWavesPerEU: 46
; NumVGPRsForWavesPerEU: 73
; Occupancy: 12
; WaveLimiterHint : 1
; COMPUTE_PGM_RSRC2:SCRATCH_EN: 0
; COMPUTE_PGM_RSRC2:USER_SGPR: 6
; COMPUTE_PGM_RSRC2:TRAP_HANDLER: 0
; COMPUTE_PGM_RSRC2:TGID_X_EN: 1
; COMPUTE_PGM_RSRC2:TGID_Y_EN: 0
; COMPUTE_PGM_RSRC2:TGID_Z_EN: 0
; COMPUTE_PGM_RSRC2:TIDIG_COMP_CNT: 0
	.text
	.p2alignl 6, 3214868480
	.fill 48, 4, 3214868480
	.type	__hip_cuid_e2d889e6cccdfb67,@object ; @__hip_cuid_e2d889e6cccdfb67
	.section	.bss,"aw",@nobits
	.globl	__hip_cuid_e2d889e6cccdfb67
__hip_cuid_e2d889e6cccdfb67:
	.byte	0                               ; 0x0
	.size	__hip_cuid_e2d889e6cccdfb67, 1

	.ident	"AMD clang version 19.0.0git (https://github.com/RadeonOpenCompute/llvm-project roc-6.4.0 25133 c7fe45cf4b819c5991fe208aaa96edf142730f1d)"
	.section	".note.GNU-stack","",@progbits
	.addrsig
	.addrsig_sym __hip_cuid_e2d889e6cccdfb67
	.amdgpu_metadata
---
amdhsa.kernels:
  - .args:
      - .actual_access:  read_only
        .address_space:  global
        .offset:         0
        .size:           8
        .value_kind:     global_buffer
      - .offset:         8
        .size:           8
        .value_kind:     by_value
      - .actual_access:  read_only
        .address_space:  global
        .offset:         16
        .size:           8
        .value_kind:     global_buffer
      - .actual_access:  read_only
        .address_space:  global
        .offset:         24
        .size:           8
        .value_kind:     global_buffer
      - .actual_access:  read_only
        .address_space:  global
        .offset:         32
        .size:           8
        .value_kind:     global_buffer
      - .offset:         40
        .size:           8
        .value_kind:     by_value
      - .actual_access:  read_only
        .address_space:  global
        .offset:         48
        .size:           8
        .value_kind:     global_buffer
      - .actual_access:  read_only
        .address_space:  global
        .offset:         56
        .size:           8
        .value_kind:     global_buffer
      - .offset:         64
        .size:           4
        .value_kind:     by_value
      - .actual_access:  read_only
        .address_space:  global
        .offset:         72
        .size:           8
        .value_kind:     global_buffer
      - .actual_access:  read_only
        .address_space:  global
        .offset:         80
        .size:           8
        .value_kind:     global_buffer
      - .actual_access:  read_only
        .address_space:  global
        .offset:         88
        .size:           8
        .value_kind:     global_buffer
      - .actual_access:  write_only
        .address_space:  global
        .offset:         96
        .size:           8
        .value_kind:     global_buffer
    .group_segment_fixed_size: 0
    .kernarg_segment_align: 8
    .kernarg_segment_size: 104
    .language:       OpenCL C
    .language_version:
      - 2
      - 0
    .max_flat_workgroup_size: 216
    .name:           fft_rtc_back_len243_factors_3_3_3_3_3_wgs_216_tpt_27_dp_op_CI_CI_sbrc_aligned_dirReg
    .private_segment_fixed_size: 0
    .sgpr_count:     46
    .sgpr_spill_count: 0
    .symbol:         fft_rtc_back_len243_factors_3_3_3_3_3_wgs_216_tpt_27_dp_op_CI_CI_sbrc_aligned_dirReg.kd
    .uniform_work_group_size: 1
    .uses_dynamic_stack: false
    .vgpr_count:     73
    .vgpr_spill_count: 0
    .wavefront_size: 32
    .workgroup_processor_mode: 1
amdhsa.target:   amdgcn-amd-amdhsa--gfx1030
amdhsa.version:
  - 1
  - 2
...

	.end_amdgpu_metadata
